;; amdgpu-corpus repo=ROCm/rocFFT kind=compiled arch=gfx906 opt=O3
	.text
	.amdgcn_target "amdgcn-amd-amdhsa--gfx906"
	.amdhsa_code_object_version 6
	.protected	fft_rtc_back_len294_factors_6_7_7_wgs_126_tpt_42_dp_ip_CI_unitstride_sbrr_R2C_dirReg ; -- Begin function fft_rtc_back_len294_factors_6_7_7_wgs_126_tpt_42_dp_ip_CI_unitstride_sbrr_R2C_dirReg
	.globl	fft_rtc_back_len294_factors_6_7_7_wgs_126_tpt_42_dp_ip_CI_unitstride_sbrr_R2C_dirReg
	.p2align	8
	.type	fft_rtc_back_len294_factors_6_7_7_wgs_126_tpt_42_dp_ip_CI_unitstride_sbrr_R2C_dirReg,@function
fft_rtc_back_len294_factors_6_7_7_wgs_126_tpt_42_dp_ip_CI_unitstride_sbrr_R2C_dirReg: ; @fft_rtc_back_len294_factors_6_7_7_wgs_126_tpt_42_dp_ip_CI_unitstride_sbrr_R2C_dirReg
; %bb.0:
	s_load_dwordx2 s[2:3], s[4:5], 0x50
	s_load_dwordx4 s[8:11], s[4:5], 0x0
	s_load_dwordx2 s[12:13], s[4:5], 0x18
	v_mul_u32_u24_e32 v1, 0x619, v0
	v_lshrrev_b32_e32 v1, 16, v1
	v_mad_u64_u32 v[1:2], s[0:1], s6, 3, v[1:2]
	v_mov_b32_e32 v5, 0
	s_waitcnt lgkmcnt(0)
	v_cmp_lt_u64_e64 s[0:1], s[10:11], 2
	v_mov_b32_e32 v2, v5
	v_mov_b32_e32 v3, 0
	;; [unrolled: 1-line block ×3, first 2 shown]
	s_and_b64 vcc, exec, s[0:1]
	v_mov_b32_e32 v4, 0
	v_mov_b32_e32 v9, v1
	s_cbranch_vccnz .LBB0_8
; %bb.1:
	s_load_dwordx2 s[0:1], s[4:5], 0x10
	s_add_u32 s6, s12, 8
	s_addc_u32 s7, s13, 0
	v_mov_b32_e32 v3, 0
	v_mov_b32_e32 v8, v2
	s_waitcnt lgkmcnt(0)
	s_add_u32 s16, s0, 8
	s_mov_b64 s[14:15], 1
	v_mov_b32_e32 v4, 0
	s_addc_u32 s17, s1, 0
	v_mov_b32_e32 v7, v1
.LBB0_2:                                ; =>This Inner Loop Header: Depth=1
	s_load_dwordx2 s[18:19], s[16:17], 0x0
                                        ; implicit-def: $vgpr9_vgpr10
	s_waitcnt lgkmcnt(0)
	v_or_b32_e32 v6, s19, v8
	v_cmp_ne_u64_e32 vcc, 0, v[5:6]
	s_and_saveexec_b64 s[0:1], vcc
	s_xor_b64 s[20:21], exec, s[0:1]
	s_cbranch_execz .LBB0_4
; %bb.3:                                ;   in Loop: Header=BB0_2 Depth=1
	v_cvt_f32_u32_e32 v2, s18
	v_cvt_f32_u32_e32 v6, s19
	s_sub_u32 s0, 0, s18
	s_subb_u32 s1, 0, s19
	v_mac_f32_e32 v2, 0x4f800000, v6
	v_rcp_f32_e32 v2, v2
	v_mul_f32_e32 v2, 0x5f7ffffc, v2
	v_mul_f32_e32 v6, 0x2f800000, v2
	v_trunc_f32_e32 v6, v6
	v_mac_f32_e32 v2, 0xcf800000, v6
	v_cvt_u32_f32_e32 v6, v6
	v_cvt_u32_f32_e32 v2, v2
	v_mul_lo_u32 v9, s0, v6
	v_mul_hi_u32 v10, s0, v2
	v_mul_lo_u32 v12, s1, v2
	v_mul_lo_u32 v11, s0, v2
	v_add_u32_e32 v9, v10, v9
	v_add_u32_e32 v9, v9, v12
	v_mul_hi_u32 v10, v2, v11
	v_mul_lo_u32 v12, v2, v9
	v_mul_hi_u32 v14, v2, v9
	v_mul_hi_u32 v13, v6, v11
	v_mul_lo_u32 v11, v6, v11
	v_mul_hi_u32 v15, v6, v9
	v_add_co_u32_e32 v10, vcc, v10, v12
	v_addc_co_u32_e32 v12, vcc, 0, v14, vcc
	v_mul_lo_u32 v9, v6, v9
	v_add_co_u32_e32 v10, vcc, v10, v11
	v_addc_co_u32_e32 v10, vcc, v12, v13, vcc
	v_addc_co_u32_e32 v11, vcc, 0, v15, vcc
	v_add_co_u32_e32 v9, vcc, v10, v9
	v_addc_co_u32_e32 v10, vcc, 0, v11, vcc
	v_add_co_u32_e32 v2, vcc, v2, v9
	v_addc_co_u32_e32 v6, vcc, v6, v10, vcc
	v_mul_lo_u32 v9, s0, v6
	v_mul_hi_u32 v10, s0, v2
	v_mul_lo_u32 v11, s1, v2
	v_mul_lo_u32 v12, s0, v2
	v_add_u32_e32 v9, v10, v9
	v_add_u32_e32 v9, v9, v11
	v_mul_lo_u32 v13, v2, v9
	v_mul_hi_u32 v14, v2, v12
	v_mul_hi_u32 v15, v2, v9
	;; [unrolled: 1-line block ×3, first 2 shown]
	v_mul_lo_u32 v12, v6, v12
	v_mul_hi_u32 v10, v6, v9
	v_add_co_u32_e32 v13, vcc, v14, v13
	v_addc_co_u32_e32 v14, vcc, 0, v15, vcc
	v_mul_lo_u32 v9, v6, v9
	v_add_co_u32_e32 v12, vcc, v13, v12
	v_addc_co_u32_e32 v11, vcc, v14, v11, vcc
	v_addc_co_u32_e32 v10, vcc, 0, v10, vcc
	v_add_co_u32_e32 v9, vcc, v11, v9
	v_addc_co_u32_e32 v10, vcc, 0, v10, vcc
	v_add_co_u32_e32 v2, vcc, v2, v9
	v_addc_co_u32_e32 v6, vcc, v6, v10, vcc
	v_mad_u64_u32 v[9:10], s[0:1], v7, v6, 0
	v_mul_hi_u32 v11, v7, v2
	v_add_co_u32_e32 v13, vcc, v11, v9
	v_addc_co_u32_e32 v14, vcc, 0, v10, vcc
	v_mad_u64_u32 v[9:10], s[0:1], v8, v2, 0
	v_mad_u64_u32 v[11:12], s[0:1], v8, v6, 0
	v_add_co_u32_e32 v2, vcc, v13, v9
	v_addc_co_u32_e32 v2, vcc, v14, v10, vcc
	v_addc_co_u32_e32 v6, vcc, 0, v12, vcc
	v_add_co_u32_e32 v2, vcc, v2, v11
	v_addc_co_u32_e32 v6, vcc, 0, v6, vcc
	v_mul_lo_u32 v11, s19, v2
	v_mul_lo_u32 v12, s18, v6
	v_mad_u64_u32 v[9:10], s[0:1], s18, v2, 0
	v_add3_u32 v10, v10, v12, v11
	v_sub_u32_e32 v11, v8, v10
	v_mov_b32_e32 v12, s19
	v_sub_co_u32_e32 v9, vcc, v7, v9
	v_subb_co_u32_e64 v11, s[0:1], v11, v12, vcc
	v_subrev_co_u32_e64 v12, s[0:1], s18, v9
	v_subbrev_co_u32_e64 v11, s[0:1], 0, v11, s[0:1]
	v_cmp_le_u32_e64 s[0:1], s19, v11
	v_cndmask_b32_e64 v13, 0, -1, s[0:1]
	v_cmp_le_u32_e64 s[0:1], s18, v12
	v_cndmask_b32_e64 v12, 0, -1, s[0:1]
	v_cmp_eq_u32_e64 s[0:1], s19, v11
	v_cndmask_b32_e64 v11, v13, v12, s[0:1]
	v_add_co_u32_e64 v12, s[0:1], 2, v2
	v_addc_co_u32_e64 v13, s[0:1], 0, v6, s[0:1]
	v_add_co_u32_e64 v14, s[0:1], 1, v2
	v_addc_co_u32_e64 v15, s[0:1], 0, v6, s[0:1]
	v_subb_co_u32_e32 v10, vcc, v8, v10, vcc
	v_cmp_ne_u32_e64 s[0:1], 0, v11
	v_cmp_le_u32_e32 vcc, s19, v10
	v_cndmask_b32_e64 v11, v15, v13, s[0:1]
	v_cndmask_b32_e64 v13, 0, -1, vcc
	v_cmp_le_u32_e32 vcc, s18, v9
	v_cndmask_b32_e64 v9, 0, -1, vcc
	v_cmp_eq_u32_e32 vcc, s19, v10
	v_cndmask_b32_e32 v9, v13, v9, vcc
	v_cmp_ne_u32_e32 vcc, 0, v9
	v_cndmask_b32_e32 v10, v6, v11, vcc
	v_cndmask_b32_e64 v6, v14, v12, s[0:1]
	v_cndmask_b32_e32 v9, v2, v6, vcc
.LBB0_4:                                ;   in Loop: Header=BB0_2 Depth=1
	s_andn2_saveexec_b64 s[0:1], s[20:21]
	s_cbranch_execz .LBB0_6
; %bb.5:                                ;   in Loop: Header=BB0_2 Depth=1
	v_cvt_f32_u32_e32 v2, s18
	s_sub_i32 s20, 0, s18
	v_rcp_iflag_f32_e32 v2, v2
	v_mul_f32_e32 v2, 0x4f7ffffe, v2
	v_cvt_u32_f32_e32 v2, v2
	v_mul_lo_u32 v6, s20, v2
	v_mul_hi_u32 v6, v2, v6
	v_add_u32_e32 v2, v2, v6
	v_mul_hi_u32 v2, v7, v2
	v_mul_lo_u32 v6, v2, s18
	v_add_u32_e32 v9, 1, v2
	v_sub_u32_e32 v6, v7, v6
	v_subrev_u32_e32 v10, s18, v6
	v_cmp_le_u32_e32 vcc, s18, v6
	v_cndmask_b32_e32 v6, v6, v10, vcc
	v_cndmask_b32_e32 v2, v2, v9, vcc
	v_add_u32_e32 v9, 1, v2
	v_cmp_le_u32_e32 vcc, s18, v6
	v_cndmask_b32_e32 v9, v2, v9, vcc
	v_mov_b32_e32 v10, v5
.LBB0_6:                                ;   in Loop: Header=BB0_2 Depth=1
	s_or_b64 exec, exec, s[0:1]
	v_mul_lo_u32 v2, v10, s18
	v_mul_lo_u32 v6, v9, s19
	v_mad_u64_u32 v[11:12], s[0:1], v9, s18, 0
	s_load_dwordx2 s[0:1], s[6:7], 0x0
	s_add_u32 s14, s14, 1
	v_add3_u32 v2, v12, v6, v2
	v_sub_co_u32_e32 v6, vcc, v7, v11
	v_subb_co_u32_e32 v2, vcc, v8, v2, vcc
	s_waitcnt lgkmcnt(0)
	v_mul_lo_u32 v2, s0, v2
	v_mul_lo_u32 v7, s1, v6
	v_mad_u64_u32 v[3:4], s[0:1], s0, v6, v[3:4]
	s_addc_u32 s15, s15, 0
	s_add_u32 s6, s6, 8
	v_add3_u32 v4, v7, v4, v2
	v_mov_b32_e32 v6, s10
	v_mov_b32_e32 v7, s11
	s_addc_u32 s7, s7, 0
	v_cmp_ge_u64_e32 vcc, s[14:15], v[6:7]
	s_add_u32 s16, s16, 8
	s_addc_u32 s17, s17, 0
	s_cbranch_vccnz .LBB0_8
; %bb.7:                                ;   in Loop: Header=BB0_2 Depth=1
	v_mov_b32_e32 v7, v9
	v_mov_b32_e32 v8, v10
	s_branch .LBB0_2
.LBB0_8:
	s_lshl_b64 s[0:1], s[10:11], 3
	s_add_u32 s0, s12, s0
	s_addc_u32 s1, s13, s1
	s_load_dwordx2 s[0:1], s[0:1], 0x0
	s_mov_b32 s6, 0xaaaaaaab
	v_mul_hi_u32 v5, v1, s6
	s_waitcnt lgkmcnt(0)
	v_mul_lo_u32 v6, s0, v10
	v_mul_lo_u32 v7, s1, v9
	v_mad_u64_u32 v[2:3], s[0:1], s0, v9, v[3:4]
	s_load_dwordx2 s[0:1], s[4:5], 0x20
	s_mov_b32 s4, 0x6186187
	v_lshrrev_b32_e32 v4, 1, v5
	v_mul_hi_u32 v5, v0, s4
	v_lshl_add_u32 v4, v4, 1, v4
	v_sub_u32_e32 v1, v1, v4
	s_waitcnt lgkmcnt(0)
	v_cmp_gt_u64_e32 vcc, s[0:1], v[9:10]
	v_mul_u32_u24_e32 v4, 42, v5
	v_cmp_le_u64_e64 s[0:1], s[0:1], v[9:10]
	v_sub_u32_e32 v24, v0, v4
	v_add3_u32 v3, v7, v3, v6
	v_add_u32_e32 v28, 42, v24
	s_and_saveexec_b64 s[4:5], s[0:1]
	s_xor_b64 s[0:1], exec, s[4:5]
; %bb.9:
	v_add_u32_e32 v28, 42, v24
; %bb.10:
	s_or_saveexec_b64 s[4:5], s[0:1]
	v_mul_u32_u24_e32 v0, 0x127, v1
	v_lshlrev_b64 v[26:27], 4, v[2:3]
	v_lshlrev_b32_e32 v32, 4, v0
	v_lshlrev_b32_e32 v29, 4, v24
	s_xor_b64 exec, exec, s[4:5]
	s_cbranch_execz .LBB0_12
; %bb.11:
	v_mov_b32_e32 v25, 0
	v_mov_b32_e32 v0, s3
	v_add_co_u32_e64 v2, s[0:1], s2, v26
	v_addc_co_u32_e64 v3, s[0:1], v0, v27, s[0:1]
	v_lshlrev_b64 v[0:1], 4, v[24:25]
	v_add3_u32 v25, 0, v32, v29
	v_add_co_u32_e64 v30, s[0:1], v2, v0
	v_addc_co_u32_e64 v31, s[0:1], v3, v1, s[0:1]
	global_load_dwordx4 v[0:3], v[30:31], off
	global_load_dwordx4 v[4:7], v[30:31], off offset:672
	global_load_dwordx4 v[8:11], v[30:31], off offset:1344
	;; [unrolled: 1-line block ×6, first 2 shown]
	s_waitcnt vmcnt(6)
	ds_write_b128 v25, v[0:3]
	s_waitcnt vmcnt(5)
	ds_write_b128 v25, v[4:7] offset:672
	s_waitcnt vmcnt(4)
	ds_write_b128 v25, v[8:11] offset:1344
	;; [unrolled: 2-line block ×6, first 2 shown]
.LBB0_12:
	s_or_b64 exec, exec, s[4:5]
	v_add_u32_e32 v31, 0, v32
	v_add3_u32 v25, 0, v29, v32
	s_waitcnt lgkmcnt(0)
	s_barrier
	v_add_u32_e32 v30, v31, v29
	ds_read_b128 v[4:7], v25 offset:2352
	ds_read_b128 v[12:15], v25 offset:3920
	;; [unrolled: 1-line block ×3, first 2 shown]
	ds_read_b128 v[16:19], v30
	ds_read_b128 v[0:3], v25 offset:672
	ds_read_b128 v[20:23], v25 offset:3136
	s_waitcnt lgkmcnt(4)
	v_add_f64 v[37:38], v[6:7], v[14:15]
	ds_read_b128 v[33:36], v25 offset:784
	s_waitcnt lgkmcnt(3)
	v_add_f64 v[39:40], v[16:17], v[8:9]
	v_add_f64 v[41:42], v[18:19], v[10:11]
	s_waitcnt lgkmcnt(1)
	v_add_f64 v[43:44], v[8:9], v[20:21]
	v_add_f64 v[45:46], v[10:11], -v[22:23]
	v_add_f64 v[49:50], v[4:5], -v[12:13]
	v_add_f64 v[53:54], v[10:11], v[22:23]
	v_add_f64 v[55:56], v[8:9], -v[20:21]
	ds_read_b128 v[8:11], v25 offset:2240
	s_waitcnt lgkmcnt(1)
	v_add_f64 v[47:48], v[33:34], v[4:5]
	v_fma_f64 v[37:38], v[37:38], -0.5, v[35:36]
	v_add_f64 v[4:5], v[4:5], v[12:13]
	s_mov_b32 s4, 0xe8584caa
	s_mov_b32 s5, 0xbfebb67a
	;; [unrolled: 1-line block ×4, first 2 shown]
	v_add_f64 v[35:36], v[35:36], v[6:7]
	v_add_f64 v[51:52], v[6:7], -v[14:15]
	v_fma_f64 v[6:7], v[49:50], s[6:7], v[37:38]
	v_fma_f64 v[33:34], v[4:5], -0.5, v[33:34]
	v_add_f64 v[20:21], v[39:40], v[20:21]
	v_add_f64 v[22:23], v[41:42], v[22:23]
	;; [unrolled: 1-line block ×3, first 2 shown]
	v_fma_f64 v[16:17], v[43:44], -0.5, v[16:17]
	v_add_f64 v[59:60], v[35:36], v[14:15]
	v_fma_f64 v[35:36], v[49:50], s[4:5], v[37:38]
	v_mul_f64 v[41:42], v[6:7], s[4:5]
	v_fma_f64 v[47:48], v[51:52], s[4:5], v[33:34]
	v_mul_f64 v[57:58], v[6:7], 0.5
	v_fma_f64 v[18:19], v[53:54], -0.5, v[18:19]
	v_fma_f64 v[37:38], v[51:52], s[6:7], v[33:34]
	v_fma_f64 v[51:52], v[45:46], s[4:5], v[16:17]
	;; [unrolled: 1-line block ×3, first 2 shown]
	v_mul_f64 v[43:44], v[35:36], -0.5
	v_add_f64 v[33:34], v[20:21], v[39:40]
	v_fma_f64 v[49:50], v[47:48], 0.5, v[41:42]
	v_mul_f64 v[41:42], v[35:36], s[4:5]
	v_fma_f64 v[47:48], v[47:48], s[6:7], v[57:58]
	v_fma_f64 v[53:54], v[55:56], s[6:7], v[18:19]
	;; [unrolled: 1-line block ×3, first 2 shown]
	v_add_f64 v[35:36], v[22:23], v[59:60]
	v_fma_f64 v[57:58], v[37:38], s[6:7], v[43:44]
	ds_read_b128 v[4:7], v25 offset:3808
	ds_read_b128 v[12:15], v25 offset:1456
	v_fma_f64 v[55:56], v[37:38], -0.5, v[41:42]
	v_add_f64 v[41:42], v[51:52], v[49:50]
	v_add_f64 v[43:44], v[53:54], v[47:48]
	v_add_f64 v[45:46], v[51:52], -v[49:50]
	v_add_f64 v[37:38], v[20:21], -v[39:40]
	v_add_f64 v[51:52], v[18:19], v[57:58]
	v_add_f64 v[39:40], v[22:23], -v[59:60]
	v_add_f64 v[47:48], v[53:54], -v[47:48]
	;; [unrolled: 3-line block ×3, first 2 shown]
	ds_read_b128 v[20:23], v25 offset:3024
	ds_read_b128 v[16:19], v25 offset:4592
	s_movk_i32 s0, 0x50
	v_mad_u32_u24 v57, v24, s0, v25
	v_cmp_gt_u32_e64 s[0:1], 7, v24
	s_waitcnt lgkmcnt(0)
	s_barrier
	ds_write_b128 v57, v[33:36]
	ds_write_b128 v57, v[41:44] offset:16
	ds_write_b128 v57, v[49:52] offset:32
	;; [unrolled: 1-line block ×5, first 2 shown]
	s_and_saveexec_b64 s[10:11], s[0:1]
	s_cbranch_execz .LBB0_14
; %bb.13:
	v_add_f64 v[33:34], v[22:23], v[18:19]
	v_add_f64 v[39:40], v[20:21], v[16:17]
	v_add_f64 v[41:42], v[20:21], -v[16:17]
	v_add_f64 v[35:36], v[10:11], v[6:7]
	v_add_f64 v[43:44], v[22:23], -v[18:19]
	;; [unrolled: 2-line block ×3, first 2 shown]
	v_add_f64 v[10:11], v[10:11], -v[6:7]
	v_fma_f64 v[33:34], v[33:34], -0.5, v[14:15]
	v_add_f64 v[14:15], v[14:15], v[22:23]
	v_add_f64 v[22:23], v[8:9], v[4:5]
	v_fma_f64 v[39:40], v[39:40], -0.5, v[12:13]
	v_add_f64 v[8:9], v[0:1], v[8:9]
	v_add_f64 v[12:13], v[12:13], v[20:21]
	v_fma_f64 v[2:3], v[35:36], -0.5, v[2:3]
	v_add_f64 v[20:21], v[45:46], v[6:7]
	v_fma_f64 v[47:48], v[41:42], s[4:5], v[33:34]
	v_fma_f64 v[33:34], v[41:42], s[6:7], v[33:34]
	v_fma_f64 v[0:1], v[22:23], -0.5, v[0:1]
	v_fma_f64 v[6:7], v[43:44], s[6:7], v[39:40]
	v_fma_f64 v[22:23], v[43:44], s[4:5], v[39:40]
	v_add_f64 v[43:44], v[14:15], v[18:19]
	v_add_f64 v[8:9], v[8:9], v[4:5]
	;; [unrolled: 1-line block ×3, first 2 shown]
	v_mul_f64 v[35:36], v[47:48], -0.5
	v_mul_f64 v[39:40], v[33:34], 0.5
	v_mul_f64 v[33:34], v[33:34], s[4:5]
	v_mul_f64 v[41:42], v[47:48], s[4:5]
	v_fma_f64 v[18:19], v[37:38], s[6:7], v[2:3]
	v_fma_f64 v[47:48], v[10:11], s[4:5], v[0:1]
	;; [unrolled: 1-line block ×6, first 2 shown]
	v_fma_f64 v[33:34], v[22:23], 0.5, v[33:34]
	v_fma_f64 v[41:42], v[6:7], -0.5, v[41:42]
	v_add_f64 v[2:3], v[20:21], -v[43:44]
	v_add_f64 v[22:23], v[20:21], v[43:44]
	v_add_f64 v[20:21], v[8:9], v[45:46]
	v_add_f64 v[0:1], v[8:9], -v[45:46]
	v_add_f64 v[6:7], v[14:15], -v[35:36]
	v_add_f64 v[10:11], v[18:19], -v[39:40]
	v_add_f64 v[18:19], v[18:19], v[39:40]
	v_add_f64 v[16:17], v[47:48], v[33:34]
	;; [unrolled: 1-line block ×4, first 2 shown]
	v_add_f64 v[8:9], v[47:48], -v[33:34]
	v_add_f64 v[4:5], v[37:38], -v[41:42]
	v_mul_i32_i24_e32 v33, 6, v28
	v_lshlrev_b32_e32 v33, 4, v33
	v_add3_u32 v33, 0, v33, v32
	ds_write_b128 v33, v[20:23]
	ds_write_b128 v33, v[16:19] offset:16
	ds_write_b128 v33, v[12:15] offset:32
	;; [unrolled: 1-line block ×5, first 2 shown]
.LBB0_14:
	s_or_b64 exec, exec, s[10:11]
	s_movk_i32 s0, 0xab
	v_mul_lo_u16_sdwa v0, v24, s0 dst_sel:DWORD dst_unused:UNUSED_PAD src0_sel:BYTE_0 src1_sel:DWORD
	v_lshrrev_b16_e32 v57, 10, v0
	v_mul_lo_u16_e32 v0, 6, v57
	v_sub_u16_e32 v58, v24, v0
	v_mov_b32_e32 v0, 6
	v_mul_u32_u24_sdwa v0, v58, v0 dst_sel:DWORD dst_unused:UNUSED_PAD src0_sel:BYTE_0 src1_sel:DWORD
	v_lshlrev_b32_e32 v33, 4, v0
	s_waitcnt lgkmcnt(0)
	s_barrier
	global_load_dwordx4 v[0:3], v33, s[8:9]
	global_load_dwordx4 v[4:7], v33, s[8:9] offset:16
	global_load_dwordx4 v[8:11], v33, s[8:9] offset:80
	;; [unrolled: 1-line block ×5, first 2 shown]
	v_lshlrev_b32_e32 v33, 4, v28
	v_add3_u32 v59, 0, v33, v32
	ds_read_b128 v[33:36], v59
	ds_read_b128 v[37:40], v25 offset:1344
	ds_read_b128 v[41:44], v30
	s_mov_b32 s16, 0x37e14327
	s_mov_b32 s6, 0x36b3c0b5
	;; [unrolled: 1-line block ×20, first 2 shown]
	s_movk_i32 s24, 0x2a0
	s_waitcnt vmcnt(5) lgkmcnt(2)
	v_mul_f64 v[45:46], v[35:36], v[2:3]
	v_mul_f64 v[2:3], v[33:34], v[2:3]
	s_waitcnt vmcnt(4) lgkmcnt(1)
	v_mul_f64 v[47:48], v[39:40], v[6:7]
	v_mul_f64 v[6:7], v[37:38], v[6:7]
	v_fma_f64 v[45:46], v[33:34], v[0:1], v[45:46]
	v_fma_f64 v[49:50], v[35:36], v[0:1], -v[2:3]
	ds_read_b128 v[0:3], v25 offset:4032
	ds_read_b128 v[33:36], v25 offset:3360
	v_fma_f64 v[47:48], v[37:38], v[4:5], v[47:48]
	v_fma_f64 v[51:52], v[39:40], v[4:5], -v[6:7]
	ds_read_b128 v[4:7], v25 offset:2016
	ds_read_b128 v[37:40], v25 offset:2688
	s_waitcnt vmcnt(3) lgkmcnt(3)
	v_mul_f64 v[53:54], v[2:3], v[10:11]
	v_mul_f64 v[10:11], v[0:1], v[10:11]
	s_waitcnt vmcnt(0) lgkmcnt(0)
	s_barrier
	v_fma_f64 v[0:1], v[0:1], v[8:9], v[53:54]
	v_fma_f64 v[2:3], v[2:3], v[8:9], -v[10:11]
	v_mul_f64 v[8:9], v[35:36], v[14:15]
	v_mul_f64 v[10:11], v[33:34], v[14:15]
	;; [unrolled: 1-line block ×4, first 2 shown]
	v_fma_f64 v[8:9], v[33:34], v[12:13], v[8:9]
	v_fma_f64 v[10:11], v[35:36], v[12:13], -v[10:11]
	v_mul_f64 v[12:13], v[39:40], v[22:23]
	v_mul_f64 v[22:23], v[37:38], v[22:23]
	v_fma_f64 v[4:5], v[4:5], v[16:17], v[14:15]
	v_fma_f64 v[6:7], v[6:7], v[16:17], -v[18:19]
	v_add_f64 v[16:17], v[45:46], v[0:1]
	v_add_f64 v[18:19], v[49:50], v[2:3]
	v_add_f64 v[0:1], v[45:46], -v[0:1]
	v_add_f64 v[2:3], v[49:50], -v[2:3]
	v_fma_f64 v[12:13], v[37:38], v[20:21], v[12:13]
	v_fma_f64 v[14:15], v[39:40], v[20:21], -v[22:23]
	v_add_f64 v[20:21], v[47:48], v[8:9]
	v_add_f64 v[22:23], v[51:52], v[10:11]
	v_add_f64 v[8:9], v[47:48], -v[8:9]
	v_add_f64 v[10:11], v[51:52], -v[10:11]
	v_add_f64 v[33:34], v[4:5], v[12:13]
	v_add_f64 v[35:36], v[6:7], v[14:15]
	v_add_f64 v[4:5], v[12:13], -v[4:5]
	v_add_f64 v[6:7], v[14:15], -v[6:7]
	;; [unrolled: 4-line block ×3, first 2 shown]
	v_add_f64 v[16:17], v[16:17], -v[33:34]
	v_add_f64 v[18:19], v[18:19], -v[35:36]
	;; [unrolled: 1-line block ×4, first 2 shown]
	v_add_f64 v[45:46], v[4:5], v[8:9]
	v_add_f64 v[47:48], v[6:7], v[10:11]
	v_add_f64 v[49:50], v[4:5], -v[8:9]
	v_add_f64 v[51:52], v[6:7], -v[10:11]
	v_add_f64 v[12:13], v[33:34], v[12:13]
	v_add_f64 v[14:15], v[35:36], v[14:15]
	v_add_f64 v[8:9], v[8:9], -v[0:1]
	v_add_f64 v[10:11], v[10:11], -v[2:3]
	;; [unrolled: 1-line block ×4, first 2 shown]
	v_add_f64 v[33:34], v[45:46], v[0:1]
	v_mul_f64 v[16:17], v[16:17], s[16:17]
	v_mul_f64 v[35:36], v[20:21], s[6:7]
	v_add_f64 v[45:46], v[47:48], v[2:3]
	v_mul_f64 v[18:19], v[18:19], s[16:17]
	v_mul_f64 v[47:48], v[22:23], s[6:7]
	;; [unrolled: 1-line block ×4, first 2 shown]
	v_add_f64 v[0:1], v[41:42], v[12:13]
	v_add_f64 v[2:3], v[43:44], v[14:15]
	v_mul_f64 v[53:54], v[8:9], s[0:1]
	v_mul_f64 v[55:56], v[10:11], s[0:1]
	v_fma_f64 v[20:21], v[20:21], s[6:7], v[16:17]
	v_fma_f64 v[35:36], v[37:38], s[10:11], -v[35:36]
	v_fma_f64 v[16:17], v[37:38], s[14:15], -v[16:17]
	v_fma_f64 v[22:23], v[22:23], s[6:7], v[18:19]
	v_fma_f64 v[37:38], v[39:40], s[10:11], -v[47:48]
	v_fma_f64 v[18:19], v[39:40], s[14:15], -v[18:19]
	v_fma_f64 v[39:40], v[4:5], s[12:13], v[49:50]
	v_fma_f64 v[41:42], v[6:7], s[12:13], v[51:52]
	;; [unrolled: 1-line block ×4, first 2 shown]
	v_fma_f64 v[8:9], v[8:9], s[0:1], -v[49:50]
	v_fma_f64 v[10:11], v[10:11], s[0:1], -v[51:52]
	;; [unrolled: 1-line block ×4, first 2 shown]
	v_fma_f64 v[39:40], v[33:34], s[22:23], v[39:40]
	v_fma_f64 v[41:42], v[45:46], s[22:23], v[41:42]
	v_add_f64 v[49:50], v[20:21], v[12:13]
	v_add_f64 v[51:52], v[22:23], v[14:15]
	v_fma_f64 v[43:44], v[33:34], s[22:23], v[8:9]
	v_fma_f64 v[47:48], v[45:46], s[22:23], v[10:11]
	;; [unrolled: 1-line block ×4, first 2 shown]
	v_add_f64 v[20:21], v[16:17], v[12:13]
	v_add_f64 v[22:23], v[18:19], v[14:15]
	;; [unrolled: 1-line block ×5, first 2 shown]
	v_add_f64 v[6:7], v[51:52], -v[39:40]
	v_add_f64 v[35:36], v[39:40], v[51:52]
	v_mov_b32_e32 v39, 4
	v_add_f64 v[8:9], v[45:46], v[20:21]
	v_add_f64 v[10:11], v[22:23], -v[33:34]
	v_add_f64 v[12:13], v[16:17], -v[47:48]
	v_add_f64 v[14:15], v[43:44], v[18:19]
	v_add_f64 v[16:17], v[47:48], v[16:17]
	v_add_f64 v[18:19], v[18:19], -v[43:44]
	v_add_f64 v[20:21], v[20:21], -v[45:46]
	v_add_f64 v[22:23], v[33:34], v[22:23]
	v_add_f64 v[33:34], v[49:50], -v[41:42]
	v_mad_u32_u24 v38, v57, s24, 0
	v_lshlrev_b32_sdwa v39, v39, v58 dst_sel:DWORD dst_unused:UNUSED_PAD src0_sel:DWORD src1_sel:BYTE_0
	v_mul_u32_u24_e32 v37, 6, v24
	v_add3_u32 v32, v38, v39, v32
	ds_write_b128 v32, v[0:3]
	ds_write_b128 v32, v[4:7] offset:96
	ds_write_b128 v32, v[8:11] offset:192
	ds_write_b128 v32, v[12:15] offset:288
	ds_write_b128 v32, v[16:19] offset:384
	ds_write_b128 v32, v[20:23] offset:480
	ds_write_b128 v32, v[33:36] offset:576
	v_lshlrev_b32_e32 v32, 4, v37
	s_waitcnt lgkmcnt(0)
	s_barrier
	global_load_dwordx4 v[0:3], v32, s[8:9] offset:576
	global_load_dwordx4 v[4:7], v32, s[8:9] offset:592
	;; [unrolled: 1-line block ×6, first 2 shown]
	ds_read_b128 v[32:35], v59
	ds_read_b128 v[36:39], v25 offset:1344
	ds_read_b128 v[40:43], v25 offset:4032
	;; [unrolled: 1-line block ×3, first 2 shown]
	ds_read_b128 v[48:51], v30
	s_waitcnt vmcnt(5) lgkmcnt(4)
	v_mul_f64 v[52:53], v[34:35], v[2:3]
	v_mul_f64 v[2:3], v[32:33], v[2:3]
	s_waitcnt vmcnt(4) lgkmcnt(3)
	v_mul_f64 v[54:55], v[38:39], v[6:7]
	v_mul_f64 v[6:7], v[36:37], v[6:7]
	v_fma_f64 v[32:33], v[32:33], v[0:1], v[52:53]
	s_waitcnt vmcnt(3) lgkmcnt(2)
	v_mul_f64 v[52:53], v[42:43], v[10:11]
	v_mul_f64 v[10:11], v[40:41], v[10:11]
	v_fma_f64 v[34:35], v[34:35], v[0:1], -v[2:3]
	ds_read_b128 v[0:3], v25 offset:2016
	v_fma_f64 v[36:37], v[36:37], v[4:5], v[54:55]
	v_fma_f64 v[38:39], v[38:39], v[4:5], -v[6:7]
	ds_read_b128 v[4:7], v25 offset:2688
	s_waitcnt vmcnt(2) lgkmcnt(0)
	v_mul_f64 v[54:55], v[2:3], v[14:15]
	v_mul_f64 v[14:15], v[0:1], v[14:15]
	v_fma_f64 v[40:41], v[40:41], v[8:9], v[52:53]
	v_fma_f64 v[8:9], v[42:43], v[8:9], -v[10:11]
	s_waitcnt vmcnt(1)
	v_mul_f64 v[10:11], v[46:47], v[18:19]
	v_mul_f64 v[18:19], v[44:45], v[18:19]
	s_waitcnt vmcnt(0)
	v_mul_f64 v[42:43], v[6:7], v[22:23]
	v_mul_f64 v[22:23], v[4:5], v[22:23]
	v_fma_f64 v[0:1], v[0:1], v[12:13], v[54:55]
	v_fma_f64 v[2:3], v[2:3], v[12:13], -v[14:15]
	v_add_f64 v[14:15], v[32:33], v[40:41]
	s_barrier
	v_fma_f64 v[10:11], v[44:45], v[16:17], v[10:11]
	v_fma_f64 v[12:13], v[46:47], v[16:17], -v[18:19]
	v_fma_f64 v[4:5], v[4:5], v[20:21], v[42:43]
	v_fma_f64 v[6:7], v[6:7], v[20:21], -v[22:23]
	v_add_f64 v[16:17], v[34:35], v[8:9]
	v_add_f64 v[18:19], v[32:33], -v[40:41]
	v_add_f64 v[8:9], v[34:35], -v[8:9]
	v_add_f64 v[20:21], v[36:37], v[10:11]
	v_add_f64 v[22:23], v[38:39], v[12:13]
	v_add_f64 v[10:11], v[36:37], -v[10:11]
	v_add_f64 v[12:13], v[38:39], -v[12:13]
	v_add_f64 v[32:33], v[0:1], v[4:5]
	;; [unrolled: 4-line block ×3, first 2 shown]
	v_add_f64 v[6:7], v[22:23], v[16:17]
	v_add_f64 v[36:37], v[20:21], -v[14:15]
	v_add_f64 v[38:39], v[22:23], -v[16:17]
	;; [unrolled: 1-line block ×6, first 2 shown]
	v_add_f64 v[40:41], v[0:1], v[10:11]
	v_add_f64 v[42:43], v[2:3], v[12:13]
	v_add_f64 v[44:45], v[0:1], -v[10:11]
	v_add_f64 v[46:47], v[2:3], -v[12:13]
	v_add_f64 v[4:5], v[32:33], v[4:5]
	v_add_f64 v[6:7], v[34:35], v[6:7]
	v_add_f64 v[10:11], v[10:11], -v[18:19]
	v_add_f64 v[12:13], v[12:13], -v[8:9]
	;; [unrolled: 1-line block ×4, first 2 shown]
	v_add_f64 v[18:19], v[40:41], v[18:19]
	v_add_f64 v[8:9], v[42:43], v[8:9]
	v_mul_f64 v[14:15], v[14:15], s[16:17]
	v_mul_f64 v[16:17], v[16:17], s[16:17]
	v_mul_f64 v[32:33], v[20:21], s[6:7]
	v_mul_f64 v[34:35], v[22:23], s[6:7]
	v_mul_f64 v[40:41], v[44:45], s[18:19]
	v_mul_f64 v[42:43], v[46:47], s[18:19]
	v_add_f64 v[0:1], v[48:49], v[4:5]
	v_add_f64 v[2:3], v[50:51], v[6:7]
	v_mul_f64 v[44:45], v[10:11], s[0:1]
	v_mul_f64 v[46:47], v[12:13], s[0:1]
	v_fma_f64 v[20:21], v[20:21], s[6:7], v[14:15]
	v_fma_f64 v[22:23], v[22:23], s[6:7], v[16:17]
	v_fma_f64 v[32:33], v[36:37], s[10:11], -v[32:33]
	v_fma_f64 v[34:35], v[38:39], s[10:11], -v[34:35]
	;; [unrolled: 1-line block ×4, first 2 shown]
	v_fma_f64 v[36:37], v[52:53], s[12:13], v[40:41]
	v_fma_f64 v[38:39], v[54:55], s[12:13], v[42:43]
	;; [unrolled: 1-line block ×4, first 2 shown]
	v_fma_f64 v[10:11], v[10:11], s[0:1], -v[40:41]
	v_fma_f64 v[12:13], v[12:13], s[0:1], -v[42:43]
	;; [unrolled: 1-line block ×4, first 2 shown]
	v_fma_f64 v[36:37], v[18:19], s[22:23], v[36:37]
	v_fma_f64 v[38:39], v[8:9], s[22:23], v[38:39]
	v_add_f64 v[48:49], v[20:21], v[4:5]
	v_add_f64 v[50:51], v[22:23], v[6:7]
	;; [unrolled: 1-line block ×4, first 2 shown]
	v_fma_f64 v[40:41], v[18:19], s[22:23], v[40:41]
	v_fma_f64 v[42:43], v[8:9], s[22:23], v[42:43]
	;; [unrolled: 1-line block ×4, first 2 shown]
	v_add_f64 v[16:17], v[32:33], v[4:5]
	v_add_f64 v[18:19], v[34:35], v[6:7]
	;; [unrolled: 1-line block ×3, first 2 shown]
	v_add_f64 v[6:7], v[50:51], -v[36:37]
	v_add_f64 v[10:11], v[22:23], -v[40:41]
	v_add_f64 v[8:9], v[42:43], v[20:21]
	v_add_f64 v[20:21], v[20:21], -v[42:43]
	v_add_f64 v[22:23], v[40:41], v[22:23]
	;; [unrolled: 2-line block ×3, first 2 shown]
	v_add_f64 v[16:17], v[46:47], v[16:17]
	v_add_f64 v[18:19], v[18:19], -v[44:45]
	v_add_f64 v[32:33], v[48:49], -v[38:39]
	v_add_f64 v[34:35], v[36:37], v[50:51]
	ds_write_b128 v25, v[0:3]
	ds_write_b128 v25, v[4:7] offset:672
	ds_write_b128 v25, v[8:11] offset:1344
	;; [unrolled: 1-line block ×6, first 2 shown]
	s_waitcnt lgkmcnt(0)
	s_barrier
	ds_read_b128 v[0:3], v30
	s_add_u32 s6, s8, 0x1200
	s_addc_u32 s7, s9, 0
	v_sub_u32_e32 v10, v31, v29
	v_cmp_ne_u32_e64 s[0:1], 0, v24
                                        ; implicit-def: $vgpr6_vgpr7
                                        ; implicit-def: $vgpr4_vgpr5
                                        ; implicit-def: $vgpr8_vgpr9
	s_and_saveexec_b64 s[4:5], s[0:1]
	s_xor_b64 s[4:5], exec, s[4:5]
	s_cbranch_execz .LBB0_16
; %bb.15:
	v_mov_b32_e32 v25, 0
	v_lshlrev_b64 v[4:5], 4, v[24:25]
	v_mov_b32_e32 v6, s7
	v_add_co_u32_e64 v4, s[0:1], s6, v4
	v_addc_co_u32_e64 v5, s[0:1], v6, v5, s[0:1]
	global_load_dwordx4 v[6:9], v[4:5], off
	ds_read_b128 v[11:14], v10 offset:4704
	s_waitcnt lgkmcnt(0)
	v_add_f64 v[4:5], v[0:1], -v[11:12]
	v_add_f64 v[15:16], v[2:3], v[13:14]
	v_add_f64 v[2:3], v[2:3], -v[13:14]
	v_add_f64 v[0:1], v[0:1], v[11:12]
	v_mul_f64 v[4:5], v[4:5], 0.5
	v_mul_f64 v[13:14], v[15:16], 0.5
	;; [unrolled: 1-line block ×3, first 2 shown]
	s_waitcnt vmcnt(0)
	v_mul_f64 v[11:12], v[4:5], v[8:9]
	v_fma_f64 v[15:16], v[13:14], v[8:9], v[2:3]
	v_fma_f64 v[2:3], v[13:14], v[8:9], -v[2:3]
	v_fma_f64 v[8:9], v[0:1], 0.5, v[11:12]
	v_fma_f64 v[0:1], v[0:1], 0.5, -v[11:12]
	v_fma_f64 v[11:12], -v[6:7], v[4:5], v[15:16]
	v_fma_f64 v[2:3], -v[6:7], v[4:5], v[2:3]
	ds_write_b64 v30, v[11:12] offset:8
	ds_write_b64 v10, v[2:3] offset:4712
	v_fma_f64 v[4:5], v[13:14], v[6:7], v[8:9]
	v_mov_b32_e32 v8, v24
	v_fma_f64 v[6:7], -v[13:14], v[6:7], v[0:1]
	v_mov_b32_e32 v9, v25
                                        ; implicit-def: $vgpr0_vgpr1
.LBB0_16:
	s_andn2_saveexec_b64 s[0:1], s[4:5]
	s_cbranch_execz .LBB0_18
; %bb.17:
	s_mov_b32 s4, 0
	s_mov_b32 s5, s4
	v_mov_b32_e32 v9, s5
	s_waitcnt lgkmcnt(0)
	v_add_f64 v[4:5], v[0:1], v[2:3]
	v_mov_b32_e32 v8, s4
	v_add_f64 v[6:7], v[0:1], -v[2:3]
	ds_write_b64 v30, v[8:9] offset:8
	ds_write_b64 v10, v[8:9] offset:4712
	ds_read_b64 v[0:1], v31 offset:2360
	v_mov_b32_e32 v8, 0
	v_mov_b32_e32 v9, 0
	s_waitcnt lgkmcnt(0)
	v_xor_b32_e32 v1, 0x80000000, v1
	ds_write_b64 v31, v[0:1] offset:2360
.LBB0_18:
	s_or_b64 exec, exec, s[0:1]
	v_mov_b32_e32 v29, 0
	s_waitcnt lgkmcnt(0)
	v_lshlrev_b64 v[0:1], 4, v[28:29]
	v_mov_b32_e32 v2, s7
	v_add_co_u32_e64 v0, s[0:1], s6, v0
	v_addc_co_u32_e64 v1, s[0:1], v2, v1, s[0:1]
	global_load_dwordx4 v[11:14], v[0:1], off
	v_lshlrev_b64 v[0:1], 4, v[8:9]
	v_mov_b32_e32 v3, s7
	v_add_co_u32_e64 v2, s[0:1], s6, v0
	v_addc_co_u32_e64 v3, s[0:1], v3, v1, s[0:1]
	global_load_dwordx4 v[15:18], v[2:3], off offset:1344
	ds_write_b64 v30, v[4:5]
	ds_write_b64 v10, v[6:7] offset:4704
	v_lshl_add_u32 v23, v28, 4, v31
	ds_read_b128 v[4:7], v23
	ds_read_b128 v[19:22], v10 offset:4032
	v_cmp_gt_u32_e64 s[0:1], 21, v24
	s_waitcnt lgkmcnt(0)
	v_add_f64 v[8:9], v[4:5], -v[19:20]
	v_add_f64 v[28:29], v[6:7], v[21:22]
	v_add_f64 v[6:7], v[6:7], -v[21:22]
	v_add_f64 v[4:5], v[4:5], v[19:20]
	v_mul_f64 v[8:9], v[8:9], 0.5
	v_mul_f64 v[21:22], v[28:29], 0.5
	;; [unrolled: 1-line block ×3, first 2 shown]
	s_waitcnt vmcnt(1)
	v_mul_f64 v[19:20], v[8:9], v[13:14]
	v_fma_f64 v[28:29], v[21:22], v[13:14], v[6:7]
	v_fma_f64 v[13:14], v[21:22], v[13:14], -v[6:7]
	v_fma_f64 v[31:32], v[4:5], 0.5, v[19:20]
	v_fma_f64 v[19:20], v[4:5], 0.5, -v[19:20]
	v_fma_f64 v[6:7], -v[11:12], v[8:9], v[28:29]
	v_fma_f64 v[13:14], -v[11:12], v[8:9], v[13:14]
	v_fma_f64 v[4:5], v[21:22], v[11:12], v[31:32]
	v_fma_f64 v[11:12], -v[21:22], v[11:12], v[19:20]
	ds_write_b128 v23, v[4:7]
	ds_write_b128 v10, v[11:14] offset:4032
	ds_read_b128 v[4:7], v30 offset:1344
	ds_read_b128 v[11:14], v10 offset:3360
	s_waitcnt lgkmcnt(0)
	v_add_f64 v[8:9], v[4:5], -v[11:12]
	v_add_f64 v[19:20], v[6:7], v[13:14]
	v_add_f64 v[6:7], v[6:7], -v[13:14]
	v_add_f64 v[4:5], v[4:5], v[11:12]
	v_mul_f64 v[8:9], v[8:9], 0.5
	v_mul_f64 v[19:20], v[19:20], 0.5
	;; [unrolled: 1-line block ×3, first 2 shown]
	s_waitcnt vmcnt(0)
	v_mul_f64 v[11:12], v[8:9], v[17:18]
	v_fma_f64 v[13:14], v[19:20], v[17:18], v[6:7]
	v_fma_f64 v[17:18], v[19:20], v[17:18], -v[6:7]
	v_fma_f64 v[21:22], v[4:5], 0.5, v[11:12]
	v_fma_f64 v[11:12], v[4:5], 0.5, -v[11:12]
	v_fma_f64 v[6:7], -v[15:16], v[8:9], v[13:14]
	v_fma_f64 v[13:14], -v[15:16], v[8:9], v[17:18]
	v_fma_f64 v[4:5], v[19:20], v[15:16], v[21:22]
	v_fma_f64 v[11:12], -v[19:20], v[15:16], v[11:12]
	ds_write_b128 v30, v[4:7] offset:1344
	ds_write_b128 v10, v[11:14] offset:3360
	s_and_saveexec_b64 s[4:5], s[0:1]
	s_cbranch_execz .LBB0_20
; %bb.19:
	global_load_dwordx4 v[2:5], v[2:3], off offset:2016
	ds_read_b128 v[6:9], v30 offset:2016
	ds_read_b128 v[11:14], v10 offset:2688
	s_waitcnt lgkmcnt(0)
	v_add_f64 v[15:16], v[6:7], -v[11:12]
	v_add_f64 v[17:18], v[8:9], v[13:14]
	v_add_f64 v[8:9], v[8:9], -v[13:14]
	v_add_f64 v[6:7], v[6:7], v[11:12]
	v_mul_f64 v[13:14], v[15:16], 0.5
	v_mul_f64 v[15:16], v[17:18], 0.5
	;; [unrolled: 1-line block ×3, first 2 shown]
	s_waitcnt vmcnt(0)
	v_mul_f64 v[11:12], v[13:14], v[4:5]
	v_fma_f64 v[17:18], v[15:16], v[4:5], v[8:9]
	v_fma_f64 v[4:5], v[15:16], v[4:5], -v[8:9]
	v_fma_f64 v[8:9], v[6:7], 0.5, v[11:12]
	v_fma_f64 v[11:12], v[6:7], 0.5, -v[11:12]
	v_fma_f64 v[6:7], -v[2:3], v[13:14], v[17:18]
	v_fma_f64 v[13:14], -v[2:3], v[13:14], v[4:5]
	v_fma_f64 v[4:5], v[15:16], v[2:3], v[8:9]
	v_fma_f64 v[11:12], -v[15:16], v[2:3], v[11:12]
	ds_write_b128 v30, v[4:7] offset:2016
	ds_write_b128 v10, v[11:14] offset:2688
.LBB0_20:
	s_or_b64 exec, exec, s[4:5]
	s_waitcnt lgkmcnt(0)
	s_barrier
	s_and_saveexec_b64 s[0:1], vcc
	s_cbranch_execz .LBB0_23
; %bb.21:
	ds_read_b128 v[4:7], v30
	ds_read_b128 v[8:11], v30 offset:672
	v_mov_b32_e32 v2, s3
	v_add_co_u32_e32 v3, vcc, s2, v26
	v_addc_co_u32_e32 v2, vcc, v2, v27, vcc
	v_add_co_u32_e32 v0, vcc, v3, v0
	v_addc_co_u32_e32 v1, vcc, v2, v1, vcc
	s_waitcnt lgkmcnt(1)
	global_store_dwordx4 v[0:1], v[4:7], off
	s_waitcnt lgkmcnt(0)
	global_store_dwordx4 v[0:1], v[8:11], off offset:672
	ds_read_b128 v[4:7], v30 offset:1344
	ds_read_b128 v[8:11], v30 offset:2016
	ds_read_b128 v[12:15], v30 offset:2688
	ds_read_b128 v[16:19], v30 offset:3360
	ds_read_b128 v[20:23], v30 offset:4032
	v_cmp_eq_u32_e32 vcc, 41, v24
	s_waitcnt lgkmcnt(4)
	global_store_dwordx4 v[0:1], v[4:7], off offset:1344
	s_waitcnt lgkmcnt(3)
	global_store_dwordx4 v[0:1], v[8:11], off offset:2016
	;; [unrolled: 2-line block ×5, first 2 shown]
	s_and_b64 exec, exec, vcc
	s_cbranch_execz .LBB0_23
; %bb.22:
	ds_read_b128 v[4:7], v30 offset:4048
	v_add_co_u32_e32 v0, vcc, 0x1000, v3
	v_addc_co_u32_e32 v1, vcc, 0, v2, vcc
	s_waitcnt lgkmcnt(0)
	global_store_dwordx4 v[0:1], v[4:7], off offset:608
.LBB0_23:
	s_endpgm
	.section	.rodata,"a",@progbits
	.p2align	6, 0x0
	.amdhsa_kernel fft_rtc_back_len294_factors_6_7_7_wgs_126_tpt_42_dp_ip_CI_unitstride_sbrr_R2C_dirReg
		.amdhsa_group_segment_fixed_size 0
		.amdhsa_private_segment_fixed_size 0
		.amdhsa_kernarg_size 88
		.amdhsa_user_sgpr_count 6
		.amdhsa_user_sgpr_private_segment_buffer 1
		.amdhsa_user_sgpr_dispatch_ptr 0
		.amdhsa_user_sgpr_queue_ptr 0
		.amdhsa_user_sgpr_kernarg_segment_ptr 1
		.amdhsa_user_sgpr_dispatch_id 0
		.amdhsa_user_sgpr_flat_scratch_init 0
		.amdhsa_user_sgpr_private_segment_size 0
		.amdhsa_uses_dynamic_stack 0
		.amdhsa_system_sgpr_private_segment_wavefront_offset 0
		.amdhsa_system_sgpr_workgroup_id_x 1
		.amdhsa_system_sgpr_workgroup_id_y 0
		.amdhsa_system_sgpr_workgroup_id_z 0
		.amdhsa_system_sgpr_workgroup_info 0
		.amdhsa_system_vgpr_workitem_id 0
		.amdhsa_next_free_vgpr 61
		.amdhsa_next_free_sgpr 25
		.amdhsa_reserve_vcc 1
		.amdhsa_reserve_flat_scratch 0
		.amdhsa_float_round_mode_32 0
		.amdhsa_float_round_mode_16_64 0
		.amdhsa_float_denorm_mode_32 3
		.amdhsa_float_denorm_mode_16_64 3
		.amdhsa_dx10_clamp 1
		.amdhsa_ieee_mode 1
		.amdhsa_fp16_overflow 0
		.amdhsa_exception_fp_ieee_invalid_op 0
		.amdhsa_exception_fp_denorm_src 0
		.amdhsa_exception_fp_ieee_div_zero 0
		.amdhsa_exception_fp_ieee_overflow 0
		.amdhsa_exception_fp_ieee_underflow 0
		.amdhsa_exception_fp_ieee_inexact 0
		.amdhsa_exception_int_div_zero 0
	.end_amdhsa_kernel
	.text
.Lfunc_end0:
	.size	fft_rtc_back_len294_factors_6_7_7_wgs_126_tpt_42_dp_ip_CI_unitstride_sbrr_R2C_dirReg, .Lfunc_end0-fft_rtc_back_len294_factors_6_7_7_wgs_126_tpt_42_dp_ip_CI_unitstride_sbrr_R2C_dirReg
                                        ; -- End function
	.section	.AMDGPU.csdata,"",@progbits
; Kernel info:
; codeLenInByte = 6008
; NumSgprs: 29
; NumVgprs: 61
; ScratchSize: 0
; MemoryBound: 0
; FloatMode: 240
; IeeeMode: 1
; LDSByteSize: 0 bytes/workgroup (compile time only)
; SGPRBlocks: 3
; VGPRBlocks: 15
; NumSGPRsForWavesPerEU: 29
; NumVGPRsForWavesPerEU: 61
; Occupancy: 4
; WaveLimiterHint : 1
; COMPUTE_PGM_RSRC2:SCRATCH_EN: 0
; COMPUTE_PGM_RSRC2:USER_SGPR: 6
; COMPUTE_PGM_RSRC2:TRAP_HANDLER: 0
; COMPUTE_PGM_RSRC2:TGID_X_EN: 1
; COMPUTE_PGM_RSRC2:TGID_Y_EN: 0
; COMPUTE_PGM_RSRC2:TGID_Z_EN: 0
; COMPUTE_PGM_RSRC2:TIDIG_COMP_CNT: 0
	.type	__hip_cuid_fcfda670d3383ca,@object ; @__hip_cuid_fcfda670d3383ca
	.section	.bss,"aw",@nobits
	.globl	__hip_cuid_fcfda670d3383ca
__hip_cuid_fcfda670d3383ca:
	.byte	0                               ; 0x0
	.size	__hip_cuid_fcfda670d3383ca, 1

	.ident	"AMD clang version 19.0.0git (https://github.com/RadeonOpenCompute/llvm-project roc-6.4.0 25133 c7fe45cf4b819c5991fe208aaa96edf142730f1d)"
	.section	".note.GNU-stack","",@progbits
	.addrsig
	.addrsig_sym __hip_cuid_fcfda670d3383ca
	.amdgpu_metadata
---
amdhsa.kernels:
  - .args:
      - .actual_access:  read_only
        .address_space:  global
        .offset:         0
        .size:           8
        .value_kind:     global_buffer
      - .offset:         8
        .size:           8
        .value_kind:     by_value
      - .actual_access:  read_only
        .address_space:  global
        .offset:         16
        .size:           8
        .value_kind:     global_buffer
      - .actual_access:  read_only
        .address_space:  global
        .offset:         24
        .size:           8
        .value_kind:     global_buffer
      - .offset:         32
        .size:           8
        .value_kind:     by_value
      - .actual_access:  read_only
        .address_space:  global
        .offset:         40
        .size:           8
        .value_kind:     global_buffer
      - .actual_access:  read_only
        .address_space:  global
        .offset:         48
        .size:           8
        .value_kind:     global_buffer
      - .offset:         56
        .size:           4
        .value_kind:     by_value
      - .actual_access:  read_only
        .address_space:  global
        .offset:         64
        .size:           8
        .value_kind:     global_buffer
      - .actual_access:  read_only
        .address_space:  global
        .offset:         72
        .size:           8
        .value_kind:     global_buffer
      - .address_space:  global
        .offset:         80
        .size:           8
        .value_kind:     global_buffer
    .group_segment_fixed_size: 0
    .kernarg_segment_align: 8
    .kernarg_segment_size: 88
    .language:       OpenCL C
    .language_version:
      - 2
      - 0
    .max_flat_workgroup_size: 126
    .name:           fft_rtc_back_len294_factors_6_7_7_wgs_126_tpt_42_dp_ip_CI_unitstride_sbrr_R2C_dirReg
    .private_segment_fixed_size: 0
    .sgpr_count:     29
    .sgpr_spill_count: 0
    .symbol:         fft_rtc_back_len294_factors_6_7_7_wgs_126_tpt_42_dp_ip_CI_unitstride_sbrr_R2C_dirReg.kd
    .uniform_work_group_size: 1
    .uses_dynamic_stack: false
    .vgpr_count:     61
    .vgpr_spill_count: 0
    .wavefront_size: 64
amdhsa.target:   amdgcn-amd-amdhsa--gfx906
amdhsa.version:
  - 1
  - 2
...

	.end_amdgpu_metadata
